;; amdgpu-corpus repo=FlagOpen/FlagGems kind=triton arch=gfx950 opt=O3 lang=triton
	.amdgcn_target "amdgcn-amd-amdhsa--gfx950"
	.amdhsa_code_object_version 5
	.text
	.globl	moe_sum_kernel                  ; -- Begin function moe_sum_kernel
	.p2align	8
	.type	moe_sum_kernel,@function
moe_sum_kernel:                         ; @moe_sum_kernel
.Lfunc_begin0:
	.cfi_sections .debug_frame
	.cfi_startproc
; %bb.25:
	.file	1 "/root/src/amdgpu-assembly/repos/FlagOpen__FlagGems/triton_aot_kernels" "moe_sum_aot.py"
	.loc	1 8 0 prologue_end              ; moe_sum_aot.py:8:0
	s_load_dwordx2 s[2:3], s[0:1], 0x0
	s_load_dwordx8 s[4:11], s[0:1], 0x8
	s_load_dwordx4 s[12:15], s[0:1], 0x28
	s_waitcnt lgkmcnt(0)
	s_branch .LBB0_0
	.loc	1 0 0 is_stmt 0                 ; :0:0
.Ltmp0:
	.p2align	8
; %bb.26:
.LBB0_0:
.Ltmp1:
	.loc	1 26 20 is_stmt 1               ; moe_sum_aot.py:26:20
	s_cmp_lt_i32 s16, s6
	.loc	1 24 49                         ; moe_sum_aot.py:24:49
	v_readfirstlane_b32 s0, v0
	.loc	1 26 20                         ; moe_sum_aot.py:26:20
	s_cbranch_scc0 .LBB0_21
; %bb.1:
	.loc	1 39 8                          ; moe_sum_aot.py:39:8
	s_and_b32 s0, s0, 0xc0
	.loc	1 24 49                         ; moe_sum_aot.py:24:49
	v_and_or_b32 v0, v0, 63, s0
	.loc	1 24 36 is_stmt 0               ; moe_sum_aot.py:24:36
	v_lshl_or_b32 v0, s17, 10, v0
	v_or_b32_e32 v1, 0x100, v0
	v_or_b32_e32 v2, 0x200, v0
	;; [unrolled: 1-line block ×3, first 2 shown]
	.loc	1 25 35 is_stmt 1               ; moe_sum_aot.py:25:35
	v_cmp_gt_i32_e64 s[20:21], s8, v0
	v_cmp_gt_i32_e64 s[18:19], s8, v1
	;; [unrolled: 1-line block ×4, first 2 shown]
	.loc	1 31 28                         ; moe_sum_aot.py:31:28
	s_cmp_gt_i32 s7, 0
	v_ashrrev_i32_e32 v1, 31, v0
	s_cbranch_scc1 .LBB0_4
; %bb.2:                                ; %.._crit_edge_crit_edge
	.loc	1 0 28 is_stmt 0                ; moe_sum_aot.py:0:28
	s_cbranch_execz .LBB0_5
; %bb.3:
	v_mov_b32_e32 v2, 0
	v_mov_b32_e32 v3, 0
	v_mov_b32_e32 v4, 0
	v_mov_b32_e32 v5, 0
	s_branch .LBB0_16
.LBB0_4:
.LBB0_5:                                ; %.lr.ph
	.loc	1 29 41 is_stmt 1               ; moe_sum_aot.py:29:41
	s_mul_i32 s8, s9, s16
	.loc	1 29 29 is_stmt 0               ; moe_sum_aot.py:29:29
	s_ashr_i32 s9, s8, 31
	s_lshl_b64 s[8:9], s[8:9], 1
	s_add_u32 s2, s2, s8
	s_addc_u32 s3, s3, s9
	v_mov_b32_e32 v10, 0
	.loc	1 31 28 is_stmt 1               ; moe_sum_aot.py:31:28
	v_lshl_add_u64 v[2:3], v[0:1], 1, s[2:3]
	s_mov_b32 s2, 0
	v_mov_b32_e32 v8, 0
	v_mov_b32_e32 v7, 0
	;; [unrolled: 1-line block ×4, first 2 shown]
	s_branch .LBB0_7
.LBB0_6:                                ;   in Loop: Header=BB0_7 Depth=1
	.loc	1 0 28 is_stmt 0                ; moe_sum_aot.py:0:28
	s_or_b64 exec, exec, s[8:9]
	.loc	1 34 15 is_stmt 1               ; moe_sum_aot.py:34:15
	s_waitcnt vmcnt(0)
	v_cvt_f32_f16_e32 v4, v11
	v_cvt_f32_f16_e32 v5, v13
	;; [unrolled: 1-line block ×4, first 2 shown]
	.loc	1 31 28                         ; moe_sum_aot.py:31:28
	s_add_i32 s7, s7, -1
	s_add_i32 s2, s2, s10
	.loc	1 34 15                         ; moe_sum_aot.py:34:15
	v_add_f32_e32 v8, v8, v4
	v_add_f32_e32 v7, v7, v5
	;; [unrolled: 1-line block ×3, first 2 shown]
	.loc	1 31 28                         ; moe_sum_aot.py:31:28
	s_cmp_lg_u32 s7, 0
	.loc	1 34 15                         ; moe_sum_aot.py:34:15
	v_add_f32_e32 v9, v9, v12
	.loc	1 31 28                         ; moe_sum_aot.py:31:28
	s_cbranch_scc0 .LBB0_15
.LBB0_7:                                ; =>This Inner Loop Header: Depth=1
	.loc	1 32 34                         ; moe_sum_aot.py:32:34
	s_ashr_i32 s3, s2, 31
	.loc	1 33 43                         ; moe_sum_aot.py:33:43
	v_lshl_add_u64 v[4:5], s[2:3], 1, v[2:3]
	v_mov_b32_e32 v11, v10
	.loc	1 33 30 is_stmt 0               ; moe_sum_aot.py:33:30
	s_and_saveexec_b64 s[8:9], s[20:21]
	s_cbranch_execz .LBB0_9
; %bb.8:                                ;   in Loop: Header=BB0_7 Depth=1
	global_load_ushort v11, v[4:5], off
.LBB0_9:                                ;   in Loop: Header=BB0_7 Depth=1
	.loc	1 0 30                          ; moe_sum_aot.py:0:30
	s_or_b64 exec, exec, s[8:9]
	.loc	1 33 30                         ; moe_sum_aot.py:33:30
	v_mov_b32_e32 v12, 0
	v_mov_b32_e32 v13, v12
	s_and_saveexec_b64 s[8:9], s[18:19]
	s_cbranch_execnz .LBB0_12
; %bb.10:                               ;   in Loop: Header=BB0_7 Depth=1
	.loc	1 0 30                          ; moe_sum_aot.py:0:30
	s_or_b64 exec, exec, s[8:9]
	.loc	1 33 30                         ; moe_sum_aot.py:33:30
	s_and_saveexec_b64 s[8:9], s[14:15]
	s_cbranch_execnz .LBB0_13
.LBB0_11:                               ;   in Loop: Header=BB0_7 Depth=1
	.loc	1 0 30                          ; moe_sum_aot.py:0:30
	s_or_b64 exec, exec, s[8:9]
	.loc	1 33 30                         ; moe_sum_aot.py:33:30
	v_mov_b32_e32 v14, 0
	s_and_saveexec_b64 s[8:9], s[0:1]
	s_cbranch_execz .LBB0_6
	s_branch .LBB0_14
.LBB0_12:                               ;   in Loop: Header=BB0_7 Depth=1
	global_load_ushort v13, v[4:5], off offset:512
	s_or_b64 exec, exec, s[8:9]
	s_and_saveexec_b64 s[8:9], s[14:15]
	s_cbranch_execz .LBB0_11
.LBB0_13:                               ;   in Loop: Header=BB0_7 Depth=1
	global_load_ushort v12, v[4:5], off offset:1024
	s_or_b64 exec, exec, s[8:9]
	v_mov_b32_e32 v14, 0
	s_and_saveexec_b64 s[8:9], s[0:1]
	s_cbranch_execz .LBB0_6
.LBB0_14:                               ;   in Loop: Header=BB0_7 Depth=1
	global_load_ushort v14, v[4:5], off offset:1536
	s_branch .LBB0_6
.LBB0_15:                               ; %._crit_edge.loopexit
	.loc	1 0 30                          ; moe_sum_aot.py:0:30
	v_cvt_f16_f32_e32 v5, v8
	v_cvt_f16_f32_e32 v4, v7
	;; [unrolled: 1-line block ×4, first 2 shown]
.LBB0_16:                               ; %._crit_edge
	.loc	1 35 46 is_stmt 1               ; moe_sum_aot.py:35:46
	s_mul_i32 s2, s12, s16
	.loc	1 35 34 is_stmt 0               ; moe_sum_aot.py:35:34
	s_ashr_i32 s3, s2, 31
	s_lshl_b64 s[2:3], s[2:3], 1
	s_add_u32 s2, s4, s2
	s_addc_u32 s3, s5, s3
	.loc	1 35 68                         ; moe_sum_aot.py:35:68
	v_lshl_add_u64 v[0:1], v[0:1], 1, s[2:3]
	.loc	1 39 8 is_stmt 1                ; moe_sum_aot.py:39:8
	s_and_saveexec_b64 s[2:3], s[20:21]
	s_cbranch_execnz .LBB0_22
; %bb.17:
	.loc	1 0 8 is_stmt 0                 ; moe_sum_aot.py:0:8
	s_or_b64 exec, exec, s[2:3]
	.loc	1 39 8                          ; moe_sum_aot.py:39:8
	s_and_saveexec_b64 s[2:3], s[18:19]
	s_cbranch_execnz .LBB0_23
.LBB0_18:
	.loc	1 0 8                           ; moe_sum_aot.py:0:8
	s_or_b64 exec, exec, s[2:3]
	.loc	1 39 8                          ; moe_sum_aot.py:39:8
	s_and_saveexec_b64 s[2:3], s[14:15]
	s_cbranch_execnz .LBB0_24
.LBB0_19:
	.loc	1 0 8                           ; moe_sum_aot.py:0:8
	s_or_b64 exec, exec, s[2:3]
	.loc	1 39 8                          ; moe_sum_aot.py:39:8
	s_and_saveexec_b64 s[2:3], s[0:1]
	s_xor_b64 s[2:3], exec, s[2:3]
	s_cbranch_execz .LBB0_21
.LBB0_20:
	global_store_short v[0:1], v2, off offset:1536
.LBB0_21:
	.loc	1 27 8 is_stmt 1                ; moe_sum_aot.py:27:8
	s_endpgm
.LBB0_22:
	.loc	1 39 8                          ; moe_sum_aot.py:39:8
	global_store_short v[0:1], v5, off
	s_or_b64 exec, exec, s[2:3]
	s_and_saveexec_b64 s[2:3], s[18:19]
	s_cbranch_execz .LBB0_18
.LBB0_23:
	global_store_short v[0:1], v4, off offset:512
	s_or_b64 exec, exec, s[2:3]
	s_and_saveexec_b64 s[2:3], s[14:15]
	s_cbranch_execz .LBB0_19
.LBB0_24:
	global_store_short v[0:1], v3, off offset:1024
	s_or_b64 exec, exec, s[2:3]
	s_and_saveexec_b64 s[2:3], s[0:1]
	s_xor_b64 s[2:3], exec, s[2:3]
	s_cbranch_execnz .LBB0_20
	s_branch .LBB0_21
.Ltmp2:
	.section	.rodata,"a",@progbits
	.p2align	6, 0x0
	.amdhsa_kernel moe_sum_kernel
		.amdhsa_group_segment_fixed_size 0
		.amdhsa_private_segment_fixed_size 0
		.amdhsa_kernarg_size 64
		.amdhsa_user_sgpr_count 16
		.amdhsa_user_sgpr_dispatch_ptr 0
		.amdhsa_user_sgpr_queue_ptr 0
		.amdhsa_user_sgpr_kernarg_segment_ptr 1
		.amdhsa_user_sgpr_dispatch_id 0
		.amdhsa_user_sgpr_kernarg_preload_length 14
		.amdhsa_user_sgpr_kernarg_preload_offset 0
		.amdhsa_user_sgpr_private_segment_size 0
		.amdhsa_uses_dynamic_stack 0
		.amdhsa_enable_private_segment 0
		.amdhsa_system_sgpr_workgroup_id_x 1
		.amdhsa_system_sgpr_workgroup_id_y 1
		.amdhsa_system_sgpr_workgroup_id_z 0
		.amdhsa_system_sgpr_workgroup_info 0
		.amdhsa_system_vgpr_workitem_id 0
		.amdhsa_next_free_vgpr 15
		.amdhsa_next_free_sgpr 22
		.amdhsa_accum_offset 16
		.amdhsa_reserve_vcc 0
		.amdhsa_reserve_xnack_mask 1
		.amdhsa_float_round_mode_32 0
		.amdhsa_float_round_mode_16_64 0
		.amdhsa_float_denorm_mode_32 3
		.amdhsa_float_denorm_mode_16_64 3
		.amdhsa_dx10_clamp 1
		.amdhsa_ieee_mode 1
		.amdhsa_fp16_overflow 0
		.amdhsa_tg_split 0
		.amdhsa_exception_fp_ieee_invalid_op 0
		.amdhsa_exception_fp_denorm_src 0
		.amdhsa_exception_fp_ieee_div_zero 0
		.amdhsa_exception_fp_ieee_overflow 0
		.amdhsa_exception_fp_ieee_underflow 0
		.amdhsa_exception_fp_ieee_inexact 0
		.amdhsa_exception_int_div_zero 0
	.end_amdhsa_kernel
	.text
.Lfunc_end0:
	.size	moe_sum_kernel, .Lfunc_end0-moe_sum_kernel
	.cfi_endproc
                                        ; -- End function
	.set moe_sum_kernel.num_vgpr, 15
	.set moe_sum_kernel.num_agpr, 0
	.set moe_sum_kernel.numbered_sgpr, 22
	.set moe_sum_kernel.num_named_barrier, 0
	.set moe_sum_kernel.private_seg_size, 0
	.set moe_sum_kernel.uses_vcc, 0
	.set moe_sum_kernel.uses_flat_scratch, 0
	.set moe_sum_kernel.has_dyn_sized_stack, 0
	.set moe_sum_kernel.has_recursion, 0
	.set moe_sum_kernel.has_indirect_call, 0
	.section	.AMDGPU.csdata,"",@progbits
; Kernel info:
; codeLenInByte = 808
; TotalNumSgprs: 28
; NumVgprs: 15
; NumAgprs: 0
; TotalNumVgprs: 15
; ScratchSize: 0
; MemoryBound: 0
; FloatMode: 240
; IeeeMode: 1
; LDSByteSize: 0 bytes/workgroup (compile time only)
; SGPRBlocks: 3
; VGPRBlocks: 1
; NumSGPRsForWavesPerEU: 28
; NumVGPRsForWavesPerEU: 15
; AccumOffset: 16
; Occupancy: 8
; WaveLimiterHint : 0
; COMPUTE_PGM_RSRC2:SCRATCH_EN: 0
; COMPUTE_PGM_RSRC2:USER_SGPR: 16
; COMPUTE_PGM_RSRC2:TRAP_HANDLER: 0
; COMPUTE_PGM_RSRC2:TGID_X_EN: 1
; COMPUTE_PGM_RSRC2:TGID_Y_EN: 1
; COMPUTE_PGM_RSRC2:TGID_Z_EN: 0
; COMPUTE_PGM_RSRC2:TIDIG_COMP_CNT: 0
; COMPUTE_PGM_RSRC3_GFX90A:ACCUM_OFFSET: 3
; COMPUTE_PGM_RSRC3_GFX90A:TG_SPLIT: 0
	.text
	.p2alignl 6, 3212836864
	.fill 256, 4, 3212836864
	.section	.AMDGPU.gpr_maximums,"",@progbits
	.set amdgpu.max_num_vgpr, 0
	.set amdgpu.max_num_agpr, 0
	.set amdgpu.max_num_sgpr, 0
	.set amdgpu.max_num_named_barrier, 0
	.text
	.section	.debug_abbrev,"",@progbits
	.byte	1                               ; Abbreviation Code
	.byte	17                              ; DW_TAG_compile_unit
	.byte	0                               ; DW_CHILDREN_no
	.byte	37                              ; DW_AT_producer
	.byte	14                              ; DW_FORM_strp
	.byte	19                              ; DW_AT_language
	.byte	5                               ; DW_FORM_data2
	.byte	3                               ; DW_AT_name
	.byte	14                              ; DW_FORM_strp
	.byte	16                              ; DW_AT_stmt_list
	.byte	23                              ; DW_FORM_sec_offset
	.byte	27                              ; DW_AT_comp_dir
	.byte	14                              ; DW_FORM_strp
	.byte	17                              ; DW_AT_low_pc
	.byte	1                               ; DW_FORM_addr
	.byte	18                              ; DW_AT_high_pc
	.byte	6                               ; DW_FORM_data4
	.byte	0                               ; EOM(1)
	.byte	0                               ; EOM(2)
	.byte	0                               ; EOM(3)
	.section	.debug_info,"",@progbits
.Lcu_begin0:
	.long	.Ldebug_info_end0-.Ldebug_info_start0 ; Length of Unit
.Ldebug_info_start0:
	.short	4                               ; DWARF version number
	.long	.debug_abbrev                   ; Offset Into Abbrev. Section
	.byte	8                               ; Address Size (in bytes)
	.byte	1                               ; Abbrev [1] 0xb:0x1f DW_TAG_compile_unit
	.long	.Linfo_string0                  ; DW_AT_producer
	.short	2                               ; DW_AT_language
	.long	.Linfo_string1                  ; DW_AT_name
	.long	.Lline_table_start0             ; DW_AT_stmt_list
	.long	.Linfo_string2                  ; DW_AT_comp_dir
	.quad	.Lfunc_begin0                   ; DW_AT_low_pc
	.long	.Lfunc_end0-.Lfunc_begin0       ; DW_AT_high_pc
.Ldebug_info_end0:
	.section	.debug_str,"MS",@progbits,1
.Linfo_string0:
	.asciz	"triton"                        ; string offset=0
.Linfo_string1:
	.asciz	"moe_sum_aot.py"                ; string offset=7
.Linfo_string2:
	.asciz	"/root/src/amdgpu-assembly/repos/FlagOpen__FlagGems/triton_aot_kernels" ; string offset=22
	.section	".note.GNU-stack","",@progbits
	.amdgpu_metadata
---
amdhsa.kernels:
  - .agpr_count:     0
    .args:
      - .address_space:  global
        .offset:         0
        .size:           8
        .value_kind:     global_buffer
      - .address_space:  global
        .offset:         8
        .size:           8
        .value_kind:     global_buffer
      - .offset:         16
        .size:           4
        .value_kind:     by_value
      - .offset:         20
        .size:           4
        .value_kind:     by_value
      - .offset:         24
        .size:           4
        .value_kind:     by_value
      - .offset:         28
        .size:           4
        .value_kind:     by_value
      - .offset:         32
        .size:           4
        .value_kind:     by_value
      - .offset:         36
        .size:           4
        .value_kind:     by_value
      - .offset:         40
        .size:           4
        .value_kind:     by_value
      - .offset:         44
        .size:           4
        .value_kind:     by_value
      - .address_space:  global
        .offset:         48
        .size:           8
        .value_kind:     global_buffer
      - .address_space:  global
        .offset:         56
        .size:           8
        .value_kind:     global_buffer
    .group_segment_fixed_size: 0
    .kernarg_segment_align: 8
    .kernarg_segment_size: 64
    .max_flat_workgroup_size: 256
    .name:           moe_sum_kernel
    .private_segment_fixed_size: 0
    .sgpr_count:     28
    .sgpr_spill_count: 0
    .symbol:         moe_sum_kernel.kd
    .uniform_work_group_size: 1
    .uses_dynamic_stack: false
    .vgpr_count:     15
    .vgpr_spill_count: 0
    .wavefront_size: 64
amdhsa.target:   amdgcn-amd-amdhsa--gfx950
amdhsa.version:
  - 1
  - 2
...

	.end_amdgpu_metadata
	.section	.debug_line,"",@progbits
.Lline_table_start0:
